;; amdgpu-corpus repo=ROCm/rocFFT kind=compiled arch=gfx1030 opt=O3
	.text
	.amdgcn_target "amdgcn-amd-amdhsa--gfx1030"
	.amdhsa_code_object_version 6
	.protected	fft_rtc_back_len64_factors_8_8_wgs_256_tpt_8_half_op_CI_CI_sbcc_twdbase6_3step ; -- Begin function fft_rtc_back_len64_factors_8_8_wgs_256_tpt_8_half_op_CI_CI_sbcc_twdbase6_3step
	.globl	fft_rtc_back_len64_factors_8_8_wgs_256_tpt_8_half_op_CI_CI_sbcc_twdbase6_3step
	.p2align	8
	.type	fft_rtc_back_len64_factors_8_8_wgs_256_tpt_8_half_op_CI_CI_sbcc_twdbase6_3step,@function
fft_rtc_back_len64_factors_8_8_wgs_256_tpt_8_half_op_CI_CI_sbcc_twdbase6_3step: ; @fft_rtc_back_len64_factors_8_8_wgs_256_tpt_8_half_op_CI_CI_sbcc_twdbase6_3step
; %bb.0:
	s_clause 0x1
	s_load_dwordx8 s[8:15], s[4:5], 0x8
	s_load_dwordx2 s[26:27], s[4:5], 0x28
	s_mov_b32 s0, exec_lo
	v_cmpx_gt_u32_e32 0xc0, v0
	s_cbranch_execz .LBB0_2
; %bb.1:
	v_lshlrev_b32_e32 v1, 2, v0
	s_waitcnt lgkmcnt(0)
	global_load_dword v2, v1, s[8:9]
	v_add_nc_u32_e32 v1, 0, v1
	s_waitcnt vmcnt(0)
	ds_write_b32 v1, v2 offset:8192
.LBB0_2:
	s_or_b32 exec_lo, exec_lo, s0
	s_waitcnt lgkmcnt(0)
	s_load_dwordx2 s[28:29], s[12:13], 0x8
	s_mov_b32 s7, 0
	s_mov_b64 s[8:9], 0
	s_waitcnt lgkmcnt(0)
	s_add_u32 s0, s28, -1
	s_addc_u32 s1, s29, -1
	s_lshr_b64 s[0:1], s[0:1], 5
	s_add_u32 s30, s0, 1
	s_addc_u32 s31, s1, 0
	v_cmp_lt_u64_e64 s0, s[6:7], s[30:31]
	s_and_b32 vcc_lo, exec_lo, s0
	s_cbranch_vccnz .LBB0_4
; %bb.3:
	v_cvt_f32_u32_e32 v1, s30
	s_sub_i32 s1, 0, s30
	s_mov_b32 s9, s7
	v_rcp_iflag_f32_e32 v1, v1
	v_mul_f32_e32 v1, 0x4f7ffffe, v1
	v_cvt_u32_f32_e32 v1, v1
	v_readfirstlane_b32 s0, v1
	s_mul_i32 s1, s1, s0
	s_mul_hi_u32 s1, s0, s1
	s_add_i32 s0, s0, s1
	s_mul_hi_u32 s0, s6, s0
	s_mul_i32 s1, s0, s30
	s_add_i32 s2, s0, 1
	s_sub_i32 s1, s6, s1
	s_sub_i32 s3, s1, s30
	s_cmp_ge_u32 s1, s30
	s_cselect_b32 s0, s2, s0
	s_cselect_b32 s1, s3, s1
	s_add_i32 s2, s0, 1
	s_cmp_ge_u32 s1, s30
	s_cselect_b32 s8, s2, s0
.LBB0_4:
	s_load_dwordx4 s[20:23], s[14:15], 0x0
	s_load_dwordx4 s[0:3], s[26:27], 0x0
	s_mul_i32 s16, s8, s31
	s_mul_hi_u32 s17, s8, s30
	s_mul_i32 s18, s8, s30
	s_add_i32 s17, s17, s16
	s_sub_u32 s34, s6, s18
	s_subb_u32 s35, 0, s17
	s_clause 0x1
	s_load_dwordx4 s[16:19], s[4:5], 0x60
	s_load_dwordx2 s[24:25], s[4:5], 0x0
	v_alignbit_b32 v1, s35, s34, 27
	s_lshl_b64 s[4:5], s[34:35], 5
	v_cmp_lt_u64_e64 s33, s[10:11], 3
	s_and_b32 vcc_lo, exec_lo, s33
	s_waitcnt lgkmcnt(0)
	v_mul_lo_u32 v2, s22, v1
	v_mul_lo_u32 v1, s2, v1
	s_mul_hi_u32 s34, s22, s4
	s_mul_hi_u32 s37, s2, s4
	s_mul_i32 s35, s23, s4
	s_mul_i32 s36, s22, s4
	;; [unrolled: 1-line block ×3, first 2 shown]
	v_add_nc_u32_e32 v2, s34, v2
	v_add_nc_u32_e32 v3, s37, v1
	s_mul_i32 s34, s2, s4
	v_mov_b32_e32 v1, s36
	v_mov_b32_e32 v7, s34
	v_add_nc_u32_e32 v2, s35, v2
	v_add_nc_u32_e32 v8, s38, v3
	s_cbranch_vccnz .LBB0_13
; %bb.5:
	s_add_u32 s34, s26, 16
	s_addc_u32 s35, s27, 0
	s_add_u32 s36, s14, 16
	s_addc_u32 s37, s15, 0
	;; [unrolled: 2-line block ×3, first 2 shown]
	s_mov_b64 s[38:39], 2
	s_mov_b32 s40, 0
	s_branch .LBB0_7
.LBB0_6:                                ;   in Loop: Header=BB0_7 Depth=1
	s_load_dwordx2 s[46:47], s[36:37], 0x0
	s_load_dwordx2 s[48:49], s[34:35], 0x0
	s_mul_i32 s31, s42, s31
	s_mul_hi_u32 s33, s42, s30
	s_mul_i32 s41, s43, s30
	s_mul_i32 s43, s44, s43
	s_mul_hi_u32 s50, s44, s42
	s_mul_i32 s51, s45, s42
	s_add_i32 s31, s33, s31
	s_add_i32 s33, s50, s43
	s_mul_i32 s52, s44, s42
	s_add_i32 s31, s31, s41
	s_add_i32 s33, s33, s51
	s_sub_u32 s8, s8, s52
	s_subb_u32 s9, s9, s33
	s_mul_i32 s30, s42, s30
	s_waitcnt lgkmcnt(0)
	s_mul_i32 s33, s46, s9
	s_mul_hi_u32 s41, s46, s8
	s_mul_i32 s43, s46, s8
	s_mul_i32 s9, s48, s9
	s_mul_hi_u32 s46, s48, s8
	s_mul_i32 s42, s47, s8
	s_add_i32 s33, s41, s33
	s_add_i32 s9, s46, s9
	s_mul_i32 s41, s49, s8
	s_add_i32 s33, s33, s42
	s_add_i32 s9, s9, s41
	v_add_co_u32 v1, vcc_lo, s43, v1
	s_add_u32 s38, s38, 1
	s_mul_i32 s8, s48, s8
	s_addc_u32 s39, s39, 0
	v_add_co_ci_u32_e32 v2, vcc_lo, s33, v2, vcc_lo
	v_add_co_u32 v7, vcc_lo, s8, v7
	v_cmp_ge_u64_e64 s8, s[38:39], s[10:11]
	s_add_u32 s34, s34, 8
	s_addc_u32 s35, s35, 0
	v_add_co_ci_u32_e32 v8, vcc_lo, s9, v8, vcc_lo
	s_add_u32 s36, s36, 8
	s_addc_u32 s37, s37, 0
	s_add_u32 s12, s12, 8
	s_addc_u32 s13, s13, 0
	s_and_b32 vcc_lo, exec_lo, s8
	s_mov_b64 s[8:9], s[44:45]
	s_cbranch_vccnz .LBB0_11
.LBB0_7:                                ; =>This Inner Loop Header: Depth=1
	s_load_dwordx2 s[42:43], s[12:13], 0x0
	s_mov_b32 s33, -1
	s_waitcnt lgkmcnt(0)
	s_or_b64 s[44:45], s[8:9], s[42:43]
	s_mov_b32 s41, s45
                                        ; implicit-def: $sgpr44_sgpr45
	s_cmp_lg_u64 s[40:41], 0
	s_cbranch_scc0 .LBB0_9
; %bb.8:                                ;   in Loop: Header=BB0_7 Depth=1
	v_cvt_f32_u32_e32 v3, s42
	v_cvt_f32_u32_e32 v4, s43
	s_sub_u32 s44, 0, s42
	s_subb_u32 s45, 0, s43
	v_fmac_f32_e32 v3, 0x4f800000, v4
	v_rcp_f32_e32 v3, v3
	v_mul_f32_e32 v3, 0x5f7ffffc, v3
	v_mul_f32_e32 v4, 0x2f800000, v3
	v_trunc_f32_e32 v4, v4
	v_fmac_f32_e32 v3, 0xcf800000, v4
	v_cvt_u32_f32_e32 v4, v4
	v_cvt_u32_f32_e32 v3, v3
	v_readfirstlane_b32 s33, v4
	v_readfirstlane_b32 s41, v3
	s_mul_i32 s46, s44, s33
	s_mul_hi_u32 s48, s44, s41
	s_mul_i32 s47, s45, s41
	s_add_i32 s46, s48, s46
	s_mul_i32 s49, s44, s41
	s_add_i32 s46, s46, s47
	s_mul_hi_u32 s48, s41, s49
	s_mul_hi_u32 s50, s33, s49
	s_mul_i32 s47, s33, s49
	s_mul_hi_u32 s49, s41, s46
	s_mul_i32 s41, s41, s46
	s_mul_hi_u32 s51, s33, s46
	s_add_u32 s41, s48, s41
	s_addc_u32 s48, 0, s49
	s_add_u32 s41, s41, s47
	s_mul_i32 s46, s33, s46
	s_addc_u32 s41, s48, s50
	s_addc_u32 s47, s51, 0
	s_add_u32 s41, s41, s46
	s_addc_u32 s46, 0, s47
	v_add_co_u32 v3, s41, v3, s41
	s_cmp_lg_u32 s41, 0
	s_addc_u32 s33, s33, s46
	v_readfirstlane_b32 s41, v3
	s_mul_i32 s46, s44, s33
	s_mul_hi_u32 s47, s44, s41
	s_mul_i32 s45, s45, s41
	s_add_i32 s46, s47, s46
	s_mul_i32 s44, s44, s41
	s_add_i32 s46, s46, s45
	s_mul_hi_u32 s47, s33, s44
	s_mul_i32 s48, s33, s44
	s_mul_hi_u32 s44, s41, s44
	s_mul_hi_u32 s49, s41, s46
	s_mul_i32 s41, s41, s46
	s_mul_hi_u32 s45, s33, s46
	s_add_u32 s41, s44, s41
	s_addc_u32 s44, 0, s49
	s_add_u32 s41, s41, s48
	s_mul_i32 s46, s33, s46
	s_addc_u32 s41, s44, s47
	s_addc_u32 s44, s45, 0
	s_add_u32 s41, s41, s46
	s_addc_u32 s44, 0, s44
	v_add_co_u32 v3, s41, v3, s41
	s_cmp_lg_u32 s41, 0
	s_addc_u32 s33, s33, s44
	v_readfirstlane_b32 s41, v3
	s_mul_i32 s45, s8, s33
	s_mul_hi_u32 s44, s8, s33
	s_mul_hi_u32 s46, s9, s33
	s_mul_i32 s33, s9, s33
	s_mul_hi_u32 s47, s8, s41
	s_mul_hi_u32 s48, s9, s41
	s_mul_i32 s41, s9, s41
	s_add_u32 s45, s47, s45
	s_addc_u32 s44, 0, s44
	s_add_u32 s41, s45, s41
	s_addc_u32 s41, s44, s48
	s_addc_u32 s44, s46, 0
	s_add_u32 s41, s41, s33
	s_addc_u32 s44, 0, s44
	s_mul_hi_u32 s33, s42, s41
	s_mul_i32 s46, s42, s44
	s_mul_i32 s47, s42, s41
	s_add_i32 s33, s33, s46
	v_sub_co_u32 v3, s46, s8, s47
	s_mul_i32 s45, s43, s41
	s_add_i32 s33, s33, s45
	v_sub_co_u32 v4, s47, v3, s42
	s_sub_i32 s45, s9, s33
	s_cmp_lg_u32 s46, 0
	s_subb_u32 s45, s45, s43
	s_cmp_lg_u32 s47, 0
	v_readfirstlane_b32 s47, v4
	s_subb_u32 s45, s45, 0
	s_cmp_ge_u32 s45, s43
	s_cselect_b32 s48, -1, 0
	s_cmp_ge_u32 s47, s42
	s_cselect_b32 s47, -1, 0
	s_cmp_eq_u32 s45, s43
	s_cselect_b32 s45, s47, s48
	s_add_u32 s47, s41, 1
	s_addc_u32 s48, s44, 0
	s_add_u32 s49, s41, 2
	s_addc_u32 s50, s44, 0
	s_cmp_lg_u32 s45, 0
	s_cselect_b32 s47, s49, s47
	s_cselect_b32 s45, s50, s48
	s_cmp_lg_u32 s46, 0
	v_readfirstlane_b32 s46, v3
	s_subb_u32 s33, s9, s33
	s_cmp_ge_u32 s33, s43
	s_cselect_b32 s48, -1, 0
	s_cmp_ge_u32 s46, s42
	s_cselect_b32 s46, -1, 0
	s_cmp_eq_u32 s33, s43
	s_cselect_b32 s33, s46, s48
	s_cmp_lg_u32 s33, 0
	s_mov_b32 s33, 0
	s_cselect_b32 s45, s45, s44
	s_cselect_b32 s44, s47, s41
.LBB0_9:                                ;   in Loop: Header=BB0_7 Depth=1
	s_andn2_b32 vcc_lo, exec_lo, s33
	s_cbranch_vccnz .LBB0_6
; %bb.10:                               ;   in Loop: Header=BB0_7 Depth=1
	v_cvt_f32_u32_e32 v3, s42
	s_sub_i32 s41, 0, s42
	v_rcp_iflag_f32_e32 v3, v3
	v_mul_f32_e32 v3, 0x4f7ffffe, v3
	v_cvt_u32_f32_e32 v3, v3
	v_readfirstlane_b32 s33, v3
	s_mul_i32 s41, s41, s33
	s_mul_hi_u32 s41, s33, s41
	s_add_i32 s33, s33, s41
	s_mul_hi_u32 s33, s8, s33
	s_mul_i32 s41, s33, s42
	s_add_i32 s44, s33, 1
	s_sub_i32 s41, s8, s41
	s_sub_i32 s45, s41, s42
	s_cmp_ge_u32 s41, s42
	s_cselect_b32 s33, s44, s33
	s_cselect_b32 s41, s45, s41
	s_add_i32 s44, s33, 1
	s_cmp_ge_u32 s41, s42
	s_mov_b32 s45, s40
	s_cselect_b32 s44, s44, s33
	s_branch .LBB0_6
.LBB0_11:
	v_cmp_lt_u64_e64 s7, s[6:7], s[30:31]
	s_mov_b64 s[8:9], 0
	s_and_b32 vcc_lo, exec_lo, s7
	s_cbranch_vccnz .LBB0_13
; %bb.12:
	v_cvt_f32_u32_e32 v3, s30
	s_sub_i32 s8, 0, s30
	v_rcp_iflag_f32_e32 v3, v3
	v_mul_f32_e32 v3, 0x4f7ffffe, v3
	v_cvt_u32_f32_e32 v3, v3
	v_readfirstlane_b32 s7, v3
	s_mul_i32 s8, s8, s7
	s_mul_hi_u32 s8, s7, s8
	s_add_i32 s7, s7, s8
	s_mul_hi_u32 s7, s6, s7
	s_mul_i32 s8, s7, s30
	s_sub_i32 s6, s6, s8
	s_add_i32 s8, s7, 1
	s_sub_i32 s9, s6, s30
	s_cmp_ge_u32 s6, s30
	s_cselect_b32 s7, s8, s7
	s_cselect_b32 s6, s9, s6
	s_add_i32 s8, s7, 1
	s_cmp_ge_u32 s6, s30
	s_cselect_b32 s8, s8, s7
.LBB0_13:
	v_and_b32_e32 v20, 31, v0
	s_lshl_b64 s[10:11], s[10:11], 3
	v_mov_b32_e32 v4, s5
	s_add_u32 s6, s26, s10
	s_addc_u32 s7, s27, s11
	v_or_b32_e32 v3, s4, v20
	s_add_u32 s12, s4, 32
	v_lshrrev_b32_e32 v16, 5, v0
	s_addc_u32 s13, s5, 0
	v_lshlrev_b32_e32 v17, 6, v20
	v_cmp_le_u64_e64 s5, s[12:13], s[28:29]
	v_cmp_gt_u64_e32 vcc_lo, s[28:29], v[3:4]
	v_add_nc_u32_e32 v18, 8, v16
	v_add_nc_u32_e32 v19, 16, v16
	;; [unrolled: 1-line block ×3, first 2 shown]
	v_or_b32_e32 v11, 32, v16
	v_add_nc_u32_e32 v12, 40, v16
	v_lshlrev_b32_e32 v14, 8, v20
	v_lshlrev_b32_e32 v15, 2, v16
	v_add_nc_u32_e32 v10, 48, v16
	v_add_nc_u32_e32 v9, 56, v16
	s_or_b32 s5, s5, vcc_lo
	s_and_saveexec_b32 s9, s5
	s_cbranch_execz .LBB0_15
; %bb.14:
	s_add_u32 s10, s14, s10
	s_addc_u32 s11, s15, s11
	v_mad_u64_u32 v[3:4], null, s22, v20, 0
	s_load_dwordx2 s[10:11], s[10:11], 0x0
	v_mad_u64_u32 v[5:6], null, s20, v16, 0
	v_mad_u64_u32 v[21:22], null, s20, v18, 0
	v_lshlrev_b64 v[1:2], 2, v[1:2]
	v_mad_u64_u32 v[28:29], null, s20, v12, 0
	v_mad_u64_u32 v[23:24], null, s23, v20, v[4:5]
	v_mov_b32_e32 v4, v6
	v_mov_b32_e32 v6, v22
	v_mad_u64_u32 v[24:25], null, s20, v19, 0
	v_mad_u64_u32 v[26:27], null, s21, v16, v[4:5]
	v_mov_b32_e32 v4, v23
	v_mad_u64_u32 v[22:23], null, s21, v18, v[6:7]
	s_waitcnt lgkmcnt(0)
	s_mul_i32 s11, s11, s8
	s_mul_hi_u32 s12, s10, s8
	s_mul_i32 s10, s10, s8
	s_add_i32 s11, s12, s11
	v_lshlrev_b64 v[3:4], 2, v[3:4]
	s_lshl_b64 s[10:11], s[10:11], 2
	v_mov_b32_e32 v6, v26
	s_add_u32 s10, s16, s10
	s_addc_u32 s11, s17, s11
	v_add_co_u32 v1, vcc_lo, s10, v1
	v_add_co_ci_u32_e32 v2, vcc_lo, s11, v2, vcc_lo
	v_lshlrev_b64 v[21:22], 2, v[21:22]
	v_add_co_u32 v36, vcc_lo, v1, v3
	v_add_co_ci_u32_e32 v37, vcc_lo, v2, v4, vcc_lo
	v_lshlrev_b64 v[2:3], 2, v[5:6]
	v_mov_b32_e32 v1, v25
	v_mad_u64_u32 v[4:5], null, s20, v13, 0
	v_mad_u64_u32 v[25:26], null, s21, v19, v[1:2]
	;; [unrolled: 1-line block ×3, first 2 shown]
	v_add_co_u32 v1, vcc_lo, v36, v2
	v_add_co_ci_u32_e32 v2, vcc_lo, v37, v3, vcc_lo
	v_mov_b32_e32 v3, v5
	v_lshlrev_b64 v[23:24], 2, v[24:25]
	v_add_co_u32 v21, vcc_lo, v36, v21
	v_add_co_ci_u32_e32 v22, vcc_lo, v37, v22, vcc_lo
	v_mad_u64_u32 v[5:6], null, s21, v13, v[3:4]
	v_mov_b32_e32 v3, v27
	v_mov_b32_e32 v6, v29
	v_add_co_u32 v23, vcc_lo, v36, v23
	v_add_co_ci_u32_e32 v24, vcc_lo, v37, v24, vcc_lo
	v_mad_u64_u32 v[29:30], null, s21, v11, v[3:4]
	v_mad_u64_u32 v[30:31], null, s20, v10, 0
	;; [unrolled: 1-line block ×4, first 2 shown]
	v_lshlrev_b64 v[4:5], 2, v[4:5]
	v_mov_b32_e32 v27, v29
	v_mov_b32_e32 v3, v31
	v_mov_b32_e32 v29, v32
	v_lshlrev_b64 v[25:26], 2, v[26:27]
	v_mad_u64_u32 v[31:32], null, s21, v10, v[3:4]
	v_mov_b32_e32 v3, v34
	v_add_co_u32 v4, vcc_lo, v36, v4
	v_lshlrev_b64 v[27:28], 2, v[28:29]
	v_add_co_ci_u32_e32 v5, vcc_lo, v37, v5, vcc_lo
	v_mad_u64_u32 v[34:35], null, s21, v9, v[3:4]
	v_add_co_u32 v25, vcc_lo, v36, v25
	v_lshlrev_b64 v[29:30], 2, v[30:31]
	v_add_co_ci_u32_e32 v26, vcc_lo, v37, v26, vcc_lo
	v_add_co_u32 v27, vcc_lo, v36, v27
	v_lshlrev_b64 v[31:32], 2, v[33:34]
	v_add_co_ci_u32_e32 v28, vcc_lo, v37, v28, vcc_lo
	v_add_co_u32 v29, vcc_lo, v36, v29
	v_add_co_ci_u32_e32 v30, vcc_lo, v37, v30, vcc_lo
	v_add_co_u32 v31, vcc_lo, v36, v31
	v_add_co_ci_u32_e32 v32, vcc_lo, v37, v32, vcc_lo
	s_clause 0x7
	global_load_dword v1, v[1:2], off
	global_load_dword v2, v[21:22], off
	global_load_dword v3, v[23:24], off
	global_load_dword v4, v[4:5], off
	global_load_dword v5, v[25:26], off
	global_load_dword v6, v[27:28], off
	global_load_dword v21, v[29:30], off
	global_load_dword v22, v[31:32], off
	v_or_b32_e32 v23, v17, v16
	v_add_nc_u32_e32 v24, v17, v16
	v_add3_u32 v25, 0, v14, v15
	v_lshl_add_u32 v23, v23, 2, 0
	v_lshl_add_u32 v24, v24, 2, 0
	s_waitcnt vmcnt(7)
	ds_write_b32 v23, v1
	s_waitcnt vmcnt(5)
	ds_write2_b32 v24, v2, v3 offset0:8 offset1:16
	s_waitcnt vmcnt(3)
	ds_write2_b32 v24, v4, v5 offset0:24 offset1:32
	;; [unrolled: 2-line block ×3, first 2 shown]
	s_waitcnt vmcnt(0)
	ds_write_b32 v25, v22 offset:224
.LBB0_15:
	s_or_b32 exec_lo, exec_lo, s9
	v_lshrrev_b32_e32 v22, 3, v0
	v_and_b32_e32 v23, 7, v0
	s_load_dwordx2 s[6:7], s[6:7], 0x0
	s_waitcnt lgkmcnt(0)
	s_barrier
	v_lshlrev_b32_e32 v0, 8, v22
	v_lshlrev_b32_e32 v1, 2, v23
	buffer_gl0_inv
	v_mul_u32_u24_e32 v25, 7, v23
	v_add_nc_u32_e32 v22, s4, v22
	s_add_i32 s4, 0, 0x2000
	v_add3_u32 v21, 0, v1, v0
	v_add3_u32 v28, 0, v0, v1
	v_lshlrev_b32_e32 v25, 2, v25
	ds_read2_b32 v[0:1], v21 offset0:8 offset1:16
	ds_read2_b32 v[2:3], v21 offset0:24 offset1:32
	ds_read_b32 v6, v28
	ds_read2_b32 v[4:5], v21 offset0:40 offset1:48
	ds_read_b32 v24, v21 offset:224
	v_mad_u32_u24 v26, v23, 28, v21
	s_waitcnt lgkmcnt(0)
	s_barrier
	buffer_gl0_inv
	v_mul_lo_u32 v23, v22, v23
	v_lshlrev_b32_e32 v22, 3, v22
	v_pk_add_f16 v3, v6, v3 neg_lo:[0,1] neg_hi:[0,1]
	v_pk_add_f16 v4, v0, v4 neg_lo:[0,1] neg_hi:[0,1]
	;; [unrolled: 1-line block ×4, first 2 shown]
	v_lshrrev_b32_e32 v27, 16, v3
	v_lshrrev_b32_e32 v31, 16, v4
	v_pk_fma_f16 v6, v6, 2.0, v3 op_sel_hi:[1,0,1] neg_lo:[0,0,1] neg_hi:[0,0,1]
	v_pk_fma_f16 v1, v1, 2.0, v5 op_sel_hi:[1,0,1] neg_lo:[0,0,1] neg_hi:[0,0,1]
	;; [unrolled: 1-line block ×3, first 2 shown]
	v_add_f16_sdwa v29, v3, v5 dst_sel:DWORD dst_unused:UNUSED_PAD src0_sel:DWORD src1_sel:WORD_1
	v_add_f16_sdwa v30, v4, v24 dst_sel:DWORD dst_unused:UNUSED_PAD src0_sel:DWORD src1_sel:WORD_1
	v_sub_f16_e32 v5, v27, v5
	v_sub_f16_e32 v24, v31, v24
	v_pk_fma_f16 v0, v0, 2.0, v4 op_sel_hi:[1,0,1] neg_lo:[0,0,1] neg_hi:[0,0,1]
	v_pk_add_f16 v1, v6, v1 neg_lo:[0,1] neg_hi:[0,1]
	v_fma_f16 v3, v3, 2.0, -v29
	v_fma_f16 v4, v4, 2.0, -v30
	v_fmamk_f16 v32, v30, 0x39a8, v29
	v_fma_f16 v27, v27, 2.0, -v5
	v_fma_f16 v31, v31, 2.0, -v24
	v_pk_add_f16 v2, v0, v2 neg_lo:[0,1] neg_hi:[0,1]
	v_lshrrev_b32_e32 v35, 16, v1
	v_fmamk_f16 v36, v24, 0x39a8, v5
	v_fmamk_f16 v33, v4, 0xb9a8, v3
	v_fmac_f16_e32 v32, 0x39a8, v24
	v_fmamk_f16 v24, v31, 0xb9a8, v27
	v_pk_fma_f16 v0, v0, 2.0, v2 op_sel_hi:[1,0,1] neg_lo:[0,0,1] neg_hi:[0,0,1]
	v_add_f16_sdwa v34, v1, v2 dst_sel:DWORD dst_unused:UNUSED_PAD src0_sel:DWORD src1_sel:WORD_1
	v_sub_f16_e32 v2, v35, v2
	v_fmac_f16_e32 v36, 0xb9a8, v30
	v_pk_fma_f16 v6, v6, 2.0, v1 op_sel_hi:[1,0,1] neg_lo:[0,0,1] neg_hi:[0,0,1]
	v_fmac_f16_e32 v33, 0x39a8, v31
	v_fmac_f16_e32 v24, 0xb9a8, v4
	v_fma_f16 v1, v1, 2.0, -v34
	v_fma_f16 v29, v29, 2.0, -v32
	;; [unrolled: 1-line block ×4, first 2 shown]
	v_pk_add_f16 v0, v6, v0 neg_lo:[0,1] neg_hi:[0,1]
	v_fma_f16 v3, v3, 2.0, -v33
	v_fma_f16 v27, v27, 2.0, -v24
	v_pack_b32_f16 v30, v32, v36
	v_pack_b32_f16 v2, v34, v2
	;; [unrolled: 1-line block ×5, first 2 shown]
	v_pk_fma_f16 v6, v6, 2.0, v0 op_sel_hi:[1,0,1] neg_lo:[0,0,1] neg_hi:[0,0,1]
	v_pack_b32_f16 v3, v3, v27
	ds_write2_b32 v26, v2, v30 offset0:6 offset1:7
	ds_write2_b32 v26, v1, v4 offset0:2 offset1:3
	;; [unrolled: 1-line block ×3, first 2 shown]
	ds_write2_b32 v26, v6, v3 offset1:1
	s_waitcnt lgkmcnt(0)
	s_barrier
	buffer_gl0_inv
	s_clause 0x1
	global_load_dwordx4 v[0:3], v25, s[24:25]
	global_load_dwordx3 v[4:6], v25, s[24:25] offset:16
	v_and_b32_e32 v24, 63, v23
	v_lshrrev_b32_e32 v25, 4, v23
	v_lshrrev_b32_e32 v26, 10, v23
	v_add_nc_u32_e32 v23, v23, v22
	v_lshl_add_u32 v29, v24, 2, 0
	v_and_b32_e32 v24, 0xfc, v25
	v_and_b32_e32 v25, 0xfc, v26
	v_and_b32_e32 v26, 63, v23
	v_lshrrev_b32_e32 v27, 4, v23
	v_lshrrev_b32_e32 v30, 10, v23
	v_add_nc_u32_e32 v23, v23, v22
	v_add_nc_u32_e32 v31, s4, v24
	v_add_nc_u32_e32 v32, s4, v25
	v_lshl_add_u32 v33, v26, 2, 0
	v_and_b32_e32 v24, 0xfc, v27
	v_and_b32_e32 v25, 0xfc, v30
	v_and_b32_e32 v26, 63, v23
	v_lshrrev_b32_e32 v27, 4, v23
	v_lshrrev_b32_e32 v30, 10, v23
	v_add_nc_u32_e32 v23, v23, v22
	v_add_nc_u32_e32 v34, s4, v24
	;; [unrolled: 9-line block ×5, first 2 shown]
	v_add_nc_u32_e32 v44, s4, v25
	v_and_b32_e32 v24, 0xfc, v27
	v_and_b32_e32 v25, 0xfc, v30
	v_add_nc_u32_e32 v22, v23, v22
	v_lshl_add_u32 v45, v26, 2, 0
	v_and_b32_e32 v26, 63, v23
	v_lshrrev_b32_e32 v27, 4, v23
	v_lshrrev_b32_e32 v23, 10, v23
	v_add_nc_u32_e32 v30, s4, v24
	v_add_nc_u32_e32 v46, s4, v25
	v_lshrrev_b32_e32 v24, 4, v22
	v_lshrrev_b32_e32 v25, 10, v22
	v_lshl_add_u32 v47, v26, 2, 0
	v_and_b32_e32 v26, 0xfc, v27
	v_and_b32_e32 v23, 0xfc, v23
	;; [unrolled: 1-line block ×5, first 2 shown]
	v_add_nc_u32_e32 v48, s4, v26
	v_add_nc_u32_e32 v49, s4, v23
	v_lshl_add_u32 v50, v22, 2, 0
	v_add_nc_u32_e32 v51, s4, v24
	v_add_nc_u32_e32 v52, s4, v25
	ds_read2_b32 v[22:23], v21 offset0:8 offset1:16
	ds_read2_b32 v[24:25], v21 offset0:24 offset1:32
	;; [unrolled: 1-line block ×3, first 2 shown]
	ds_read_b32 v28, v28
	ds_read_u16 v53, v21 offset:194
	ds_read_b32 v54, v21 offset:224
	ds_read_b32 v29, v29 offset:8192
	;; [unrolled: 1-line block ×25, first 2 shown]
	s_waitcnt lgkmcnt(23)
	v_lshrrev_b32_e32 v59, 16, v29
	s_waitcnt lgkmcnt(22)
	v_mul_f16_sdwa v62, v29, v31 dst_sel:DWORD dst_unused:UNUSED_PAD src0_sel:DWORD src1_sel:WORD_1
	s_waitcnt lgkmcnt(20)
	v_lshrrev_b32_e32 v63, 16, v33
	s_waitcnt lgkmcnt(19)
	v_mul_f16_sdwa v64, v33, v34 dst_sel:DWORD dst_unused:UNUSED_PAD src0_sel:DWORD src1_sel:WORD_1
	;; [unrolled: 4-line block ×5, first 2 shown]
	v_mul_f16_sdwa v78, v59, v31 dst_sel:DWORD dst_unused:UNUSED_PAD src0_sel:DWORD src1_sel:WORD_1
	s_waitcnt lgkmcnt(8)
	v_lshrrev_b32_e32 v71, 16, v45
	s_waitcnt lgkmcnt(7)
	v_mul_f16_sdwa v72, v45, v30 dst_sel:DWORD dst_unused:UNUSED_PAD src0_sel:DWORD src1_sel:WORD_1
	v_fmac_f16_e32 v62, v59, v31
	s_waitcnt lgkmcnt(5)
	v_lshrrev_b32_e32 v73, 16, v47
	s_waitcnt lgkmcnt(4)
	v_mul_f16_sdwa v74, v47, v48 dst_sel:DWORD dst_unused:UNUSED_PAD src0_sel:DWORD src1_sel:WORD_1
	v_mul_f16_sdwa v59, v63, v34 dst_sel:DWORD dst_unused:UNUSED_PAD src0_sel:DWORD src1_sel:WORD_1
	s_waitcnt lgkmcnt(2)
	v_lshrrev_b32_e32 v75, 16, v50
	s_waitcnt lgkmcnt(1)
	v_mul_f16_sdwa v76, v50, v51 dst_sel:DWORD dst_unused:UNUSED_PAD src0_sel:DWORD src1_sel:WORD_1
	v_fmac_f16_e32 v64, v63, v34
	v_mul_f16_sdwa v63, v65, v37 dst_sel:DWORD dst_unused:UNUSED_PAD src0_sel:DWORD src1_sel:WORD_1
	v_fmac_f16_e32 v66, v65, v37
	;; [unrolled: 2-line block ×7, first 2 shown]
	v_fma_f16 v29, v29, v31, -v78
	v_fma_f16 v31, v33, v34, -v59
	;; [unrolled: 1-line block ×6, first 2 shown]
	v_mul_f16_sdwa v37, v62, v32 dst_sel:DWORD dst_unused:UNUSED_PAD src0_sel:DWORD src1_sel:WORD_1
	v_fma_f16 v39, v47, v48, -v71
	v_mul_f16_sdwa v40, v64, v35 dst_sel:DWORD dst_unused:UNUSED_PAD src0_sel:DWORD src1_sel:WORD_1
	v_fma_f16 v42, v50, v51, -v73
	v_mul_f16_sdwa v43, v66, v38 dst_sel:DWORD dst_unused:UNUSED_PAD src0_sel:DWORD src1_sel:WORD_1
	v_mul_f16_sdwa v45, v68, v41 dst_sel:DWORD dst_unused:UNUSED_PAD src0_sel:DWORD src1_sel:WORD_1
	;; [unrolled: 1-line block ×5, first 2 shown]
	s_waitcnt lgkmcnt(0)
	v_mul_f16_sdwa v51, v76, v52 dst_sel:DWORD dst_unused:UNUSED_PAD src0_sel:DWORD src1_sel:WORD_1
	v_lshrrev_b32_e32 v55, 16, v54
	v_lshrrev_b32_e32 v56, 16, v22
	;; [unrolled: 1-line block ×6, first 2 shown]
	v_mul_f16_sdwa v59, v29, v32 dst_sel:DWORD dst_unused:UNUSED_PAD src0_sel:DWORD src1_sel:WORD_1
	v_fma_f16 v29, v32, v29, -v37
	v_mul_f16_sdwa v37, v31, v35 dst_sel:DWORD dst_unused:UNUSED_PAD src0_sel:DWORD src1_sel:WORD_1
	v_fma_f16 v31, v35, v31, -v40
	v_fma_f16 v40, v38, v33, -v43
	v_mul_f16_sdwa v33, v33, v38 dst_sel:DWORD dst_unused:UNUSED_PAD src0_sel:DWORD src1_sel:WORD_1
	v_fma_f16 v43, v41, v34, -v45
	v_mul_f16_sdwa v34, v34, v41 dst_sel:DWORD dst_unused:UNUSED_PAD src0_sel:DWORD src1_sel:WORD_1
	;; [unrolled: 2-line block ×6, first 2 shown]
	v_fmac_f16_e32 v59, v32, v62
	v_fmac_f16_e32 v37, v35, v64
	;; [unrolled: 1-line block ×8, first 2 shown]
	v_lshrrev_b32_e32 v77, 16, v28
	s_waitcnt vmcnt(0)
	s_barrier
	buffer_gl0_inv
	v_mul_f16_sdwa v32, v0, v56 dst_sel:DWORD dst_unused:UNUSED_PAD src0_sel:WORD_1 src1_sel:DWORD
	v_mul_f16_sdwa v35, v0, v22 dst_sel:DWORD dst_unused:UNUSED_PAD src0_sel:WORD_1 src1_sel:DWORD
	;; [unrolled: 1-line block ×10, first 2 shown]
	v_mul_f16_sdwa v63, v53, v5 dst_sel:DWORD dst_unused:UNUSED_PAD src0_sel:DWORD src1_sel:WORD_1
	v_mul_f16_sdwa v64, v5, v27 dst_sel:DWORD dst_unused:UNUSED_PAD src0_sel:WORD_1 src1_sel:DWORD
	v_mul_f16_sdwa v65, v55, v6 dst_sel:DWORD dst_unused:UNUSED_PAD src0_sel:DWORD src1_sel:WORD_1
	v_mul_f16_sdwa v66, v54, v6 dst_sel:DWORD dst_unused:UNUSED_PAD src0_sel:DWORD src1_sel:WORD_1
	v_fma_f16 v35, v0, v56, -v35
	v_fmac_f16_e32 v32, v0, v22
	v_fmac_f16_e32 v38, v1, v23
	v_fma_f16 v0, v1, v57, -v41
	v_fmac_f16_e32 v44, v2, v24
	v_fma_f16 v1, v2, v58, -v46
	v_fmac_f16_e32 v49, v3, v25
	v_fma_f16 v2, v3, v60, -v51
	v_fmac_f16_e32 v52, v4, v26
	v_fma_f16 v3, v4, v61, -v62
	v_fmac_f16_e32 v63, v5, v27
	v_fma_f16 v4, v53, v5, -v64
	v_fmac_f16_e32 v65, v54, v6
	v_fma_f16 v5, v55, v6, -v66
	v_sub_f16_e32 v6, v28, v49
	v_sub_f16_e32 v2, v77, v2
	;; [unrolled: 1-line block ×8, first 2 shown]
	v_fma_f16 v25, v28, 2.0, -v6
	v_fma_f16 v26, v77, 2.0, -v2
	v_fma_f16 v27, v38, 2.0, -v22
	v_fma_f16 v0, v0, 2.0, -v4
	v_fma_f16 v28, v32, 2.0, -v23
	v_fma_f16 v32, v35, 2.0, -v3
	v_fma_f16 v35, v44, 2.0, -v24
	v_fma_f16 v1, v1, 2.0, -v5
	v_add_f16_e32 v4, v6, v4
	v_sub_f16_e32 v22, v2, v22
	v_add_f16_e32 v5, v23, v5
	v_sub_f16_e32 v24, v3, v24
	v_sub_f16_e32 v27, v25, v27
	;; [unrolled: 1-line block ×3, first 2 shown]
	v_fma_f16 v6, v6, 2.0, -v4
	v_fma_f16 v2, v2, 2.0, -v22
	v_sub_f16_e32 v35, v28, v35
	v_sub_f16_e32 v1, v32, v1
	v_fma_f16 v23, v23, 2.0, -v5
	v_fma_f16 v3, v3, 2.0, -v24
	v_fmamk_f16 v38, v5, 0x39a8, v4
	v_fmamk_f16 v41, v24, 0x39a8, v22
	v_fma_f16 v25, v25, 2.0, -v27
	v_fma_f16 v26, v26, 2.0, -v0
	;; [unrolled: 1-line block ×4, first 2 shown]
	v_fmamk_f16 v44, v23, 0xb9a8, v6
	v_fmamk_f16 v46, v3, 0xb9a8, v2
	v_add_f16_e32 v1, v27, v1
	v_sub_f16_e32 v35, v0, v35
	v_fmac_f16_e32 v38, 0x39a8, v24
	v_fmac_f16_e32 v41, 0xb9a8, v5
	v_sub_f16_e32 v5, v25, v28
	v_sub_f16_e32 v24, v26, v32
	v_fmac_f16_e32 v44, 0x39a8, v3
	v_fmac_f16_e32 v46, 0xb9a8, v23
	v_fma_f16 v3, v27, 2.0, -v1
	v_fma_f16 v0, v0, 2.0, -v35
	;; [unrolled: 1-line block ×4, first 2 shown]
	v_mul_f16_e32 v23, v35, v39
	v_mul_f16_e32 v27, v1, v39
	;; [unrolled: 1-line block ×4, first 2 shown]
	v_fma_f16 v25, v25, 2.0, -v5
	v_fma_f16 v26, v26, 2.0, -v24
	;; [unrolled: 1-line block ×4, first 2 shown]
	v_mul_f16_e32 v39, v0, v33
	v_mul_f16_e32 v33, v3, v33
	;; [unrolled: 1-line block ×8, first 2 shown]
	v_fmac_f16_e32 v23, v1, v48
	v_fma_f16 v1, v35, v48, -v27
	v_fmac_f16_e32 v28, v38, v50
	v_fma_f16 v27, v41, v50, -v32
	v_mul_f16_e32 v32, v26, v59
	v_mul_f16_e32 v35, v25, v59
	;; [unrolled: 1-line block ×4, first 2 shown]
	v_fmac_f16_e32 v39, v3, v40
	v_fma_f16 v0, v0, v40, -v33
	v_fmac_f16_e32 v42, v4, v43
	v_fma_f16 v3, v22, v43, -v34
	;; [unrolled: 2-line block ×4, first 2 shown]
	v_pack_b32_f16 v1, v23, v1
	v_fmac_f16_e32 v32, v25, v29
	v_fma_f16 v23, v26, v29, -v35
	v_fmac_f16_e32 v38, v6, v31
	v_fma_f16 v2, v2, v31, -v37
	v_pack_b32_f16 v22, v28, v27
	v_pack_b32_f16 v0, v39, v0
	;; [unrolled: 1-line block ×7, first 2 shown]
	ds_write2_b32 v21, v1, v22 offset0:48 offset1:56
	ds_write2_b32 v21, v0, v3 offset0:16 offset1:24
	;; [unrolled: 1-line block ×3, first 2 shown]
	ds_write2_b32 v21, v6, v2 offset1:8
	s_waitcnt lgkmcnt(0)
	s_barrier
	buffer_gl0_inv
	s_and_saveexec_b32 s4, s5
	s_cbranch_execz .LBB0_17
; %bb.16:
	v_mad_u64_u32 v[0:1], null, s2, v20, 0
	v_mad_u64_u32 v[2:3], null, s0, v16, 0
	v_or_b32_e32 v21, v17, v16
	s_mul_i32 s2, s7, s8
	s_mul_hi_u32 s5, s6, s8
	s_mul_i32 s4, s6, s8
	s_add_i32 s5, s5, s2
	v_mad_u64_u32 v[4:5], null, s3, v20, v[1:2]
	v_lshl_add_u32 v1, v21, 2, 0
	v_mad_u64_u32 v[20:21], null, s0, v19, 0
	s_lshl_b64 s[2:3], s[4:5], 2
	ds_read_b32 v22, v1
	v_mad_u64_u32 v[5:6], null, s1, v16, v[3:4]
	v_lshlrev_b64 v[6:7], 2, v[7:8]
	v_mov_b32_e32 v1, v4
	s_add_u32 s2, s18, s2
	s_addc_u32 s3, s19, s3
	v_mov_b32_e32 v3, v5
	v_mad_u64_u32 v[4:5], null, s0, v18, 0
	v_add_co_u32 v23, vcc_lo, s2, v6
	v_mov_b32_e32 v6, v21
	v_add_co_ci_u32_e32 v24, vcc_lo, s3, v7, vcc_lo
	v_lshlrev_b64 v[0:1], 2, v[0:1]
	v_lshlrev_b64 v[2:3], 2, v[2:3]
	v_mad_u64_u32 v[7:8], null, s1, v18, v[5:6]
	v_add_co_u32 v23, vcc_lo, v23, v0
	v_add_co_ci_u32_e32 v24, vcc_lo, v24, v1, vcc_lo
	v_mad_u64_u32 v[18:19], null, s1, v19, v[6:7]
	v_add_nc_u32_e32 v6, v17, v16
	v_mov_b32_e32 v5, v7
	v_add_co_u32 v0, vcc_lo, v23, v2
	v_add_co_ci_u32_e32 v1, vcc_lo, v24, v3, vcc_lo
	v_lshl_add_u32 v25, v6, 2, 0
	v_lshlrev_b64 v[2:3], 2, v[4:5]
	v_mov_b32_e32 v21, v18
	v_mad_u64_u32 v[16:17], null, s0, v13, 0
	ds_read2_b32 v[4:5], v25 offset0:8 offset1:16
	v_mad_u64_u32 v[18:19], null, s0, v12, 0
	v_lshlrev_b64 v[6:7], 2, v[20:21]
	v_add_co_u32 v2, vcc_lo, v23, v2
	v_add_co_ci_u32_e32 v3, vcc_lo, v24, v3, vcc_lo
	v_add3_u32 v20, 0, v14, v15
	v_add_co_u32 v6, vcc_lo, v23, v6
	v_mad_u64_u32 v[14:15], null, s0, v11, 0
	v_add_co_ci_u32_e32 v7, vcc_lo, v24, v7, vcc_lo
	v_mov_b32_e32 v8, v17
	ds_read_b32 v21, v20 offset:224
	s_waitcnt lgkmcnt(2)
	global_store_dword v[0:1], v22, off
	s_waitcnt lgkmcnt(1)
	global_store_dword v[2:3], v4, off
	global_store_dword v[6:7], v5, off
	v_mad_u64_u32 v[3:4], null, s0, v10, 0
	v_mad_u64_u32 v[0:1], null, s1, v13, v[8:9]
	v_mov_b32_e32 v1, v15
	v_mov_b32_e32 v2, v19
	v_mad_u64_u32 v[5:6], null, s1, v11, v[1:2]
	v_mad_u64_u32 v[1:2], null, s1, v12, v[2:3]
	;; [unrolled: 1-line block ×3, first 2 shown]
	v_mov_b32_e32 v17, v0
	v_mov_b32_e32 v0, v4
	v_mov_b32_e32 v15, v5
	ds_read2_b32 v[11:12], v25 offset0:24 offset1:32
	v_mov_b32_e32 v19, v1
	v_lshlrev_b64 v[16:17], 2, v[16:17]
	v_mad_u64_u32 v[0:1], null, s1, v10, v[0:1]
	v_mov_b32_e32 v1, v7
	v_lshlrev_b64 v[7:8], 2, v[14:15]
	v_lshlrev_b64 v[13:14], 2, v[18:19]
	v_add_co_u32 v16, vcc_lo, v23, v16
	v_mad_u64_u32 v[1:2], null, s1, v9, v[1:2]
	ds_read2_b32 v[9:10], v20 offset0:40 offset1:48
	v_mov_b32_e32 v4, v0
	v_add_co_ci_u32_e32 v17, vcc_lo, v24, v17, vcc_lo
	v_add_co_u32 v18, vcc_lo, v23, v7
	v_mov_b32_e32 v7, v1
	v_lshlrev_b64 v[2:3], 2, v[3:4]
	v_add_co_ci_u32_e32 v19, vcc_lo, v24, v8, vcc_lo
	v_add_co_u32 v0, vcc_lo, v23, v13
	v_lshlrev_b64 v[4:5], 2, v[6:7]
	v_add_co_ci_u32_e32 v1, vcc_lo, v24, v14, vcc_lo
	v_add_co_u32 v2, vcc_lo, v23, v2
	v_add_co_ci_u32_e32 v3, vcc_lo, v24, v3, vcc_lo
	v_add_co_u32 v4, vcc_lo, v23, v4
	v_add_co_ci_u32_e32 v5, vcc_lo, v24, v5, vcc_lo
	s_waitcnt lgkmcnt(1)
	global_store_dword v[16:17], v11, off
	global_store_dword v[18:19], v12, off
	s_waitcnt lgkmcnt(0)
	global_store_dword v[0:1], v9, off
	global_store_dword v[2:3], v10, off
	global_store_dword v[4:5], v21, off
.LBB0_17:
	s_endpgm
	.section	.rodata,"a",@progbits
	.p2align	6, 0x0
	.amdhsa_kernel fft_rtc_back_len64_factors_8_8_wgs_256_tpt_8_half_op_CI_CI_sbcc_twdbase6_3step
		.amdhsa_group_segment_fixed_size 0
		.amdhsa_private_segment_fixed_size 0
		.amdhsa_kernarg_size 112
		.amdhsa_user_sgpr_count 6
		.amdhsa_user_sgpr_private_segment_buffer 1
		.amdhsa_user_sgpr_dispatch_ptr 0
		.amdhsa_user_sgpr_queue_ptr 0
		.amdhsa_user_sgpr_kernarg_segment_ptr 1
		.amdhsa_user_sgpr_dispatch_id 0
		.amdhsa_user_sgpr_flat_scratch_init 0
		.amdhsa_user_sgpr_private_segment_size 0
		.amdhsa_wavefront_size32 1
		.amdhsa_uses_dynamic_stack 0
		.amdhsa_system_sgpr_private_segment_wavefront_offset 0
		.amdhsa_system_sgpr_workgroup_id_x 1
		.amdhsa_system_sgpr_workgroup_id_y 0
		.amdhsa_system_sgpr_workgroup_id_z 0
		.amdhsa_system_sgpr_workgroup_info 0
		.amdhsa_system_vgpr_workitem_id 0
		.amdhsa_next_free_vgpr 79
		.amdhsa_next_free_sgpr 53
		.amdhsa_reserve_vcc 1
		.amdhsa_reserve_flat_scratch 0
		.amdhsa_float_round_mode_32 0
		.amdhsa_float_round_mode_16_64 0
		.amdhsa_float_denorm_mode_32 3
		.amdhsa_float_denorm_mode_16_64 3
		.amdhsa_dx10_clamp 1
		.amdhsa_ieee_mode 1
		.amdhsa_fp16_overflow 0
		.amdhsa_workgroup_processor_mode 1
		.amdhsa_memory_ordered 1
		.amdhsa_forward_progress 0
		.amdhsa_shared_vgpr_count 0
		.amdhsa_exception_fp_ieee_invalid_op 0
		.amdhsa_exception_fp_denorm_src 0
		.amdhsa_exception_fp_ieee_div_zero 0
		.amdhsa_exception_fp_ieee_overflow 0
		.amdhsa_exception_fp_ieee_underflow 0
		.amdhsa_exception_fp_ieee_inexact 0
		.amdhsa_exception_int_div_zero 0
	.end_amdhsa_kernel
	.text
.Lfunc_end0:
	.size	fft_rtc_back_len64_factors_8_8_wgs_256_tpt_8_half_op_CI_CI_sbcc_twdbase6_3step, .Lfunc_end0-fft_rtc_back_len64_factors_8_8_wgs_256_tpt_8_half_op_CI_CI_sbcc_twdbase6_3step
                                        ; -- End function
	.section	.AMDGPU.csdata,"",@progbits
; Kernel info:
; codeLenInByte = 5232
; NumSgprs: 55
; NumVgprs: 79
; ScratchSize: 0
; MemoryBound: 0
; FloatMode: 240
; IeeeMode: 1
; LDSByteSize: 0 bytes/workgroup (compile time only)
; SGPRBlocks: 6
; VGPRBlocks: 9
; NumSGPRsForWavesPerEU: 55
; NumVGPRsForWavesPerEU: 79
; Occupancy: 12
; WaveLimiterHint : 1
; COMPUTE_PGM_RSRC2:SCRATCH_EN: 0
; COMPUTE_PGM_RSRC2:USER_SGPR: 6
; COMPUTE_PGM_RSRC2:TRAP_HANDLER: 0
; COMPUTE_PGM_RSRC2:TGID_X_EN: 1
; COMPUTE_PGM_RSRC2:TGID_Y_EN: 0
; COMPUTE_PGM_RSRC2:TGID_Z_EN: 0
; COMPUTE_PGM_RSRC2:TIDIG_COMP_CNT: 0
	.text
	.p2alignl 6, 3214868480
	.fill 48, 4, 3214868480
	.type	__hip_cuid_530dee3a06b43f44,@object ; @__hip_cuid_530dee3a06b43f44
	.section	.bss,"aw",@nobits
	.globl	__hip_cuid_530dee3a06b43f44
__hip_cuid_530dee3a06b43f44:
	.byte	0                               ; 0x0
	.size	__hip_cuid_530dee3a06b43f44, 1

	.ident	"AMD clang version 19.0.0git (https://github.com/RadeonOpenCompute/llvm-project roc-6.4.0 25133 c7fe45cf4b819c5991fe208aaa96edf142730f1d)"
	.section	".note.GNU-stack","",@progbits
	.addrsig
	.addrsig_sym __hip_cuid_530dee3a06b43f44
	.amdgpu_metadata
---
amdhsa.kernels:
  - .args:
      - .actual_access:  read_only
        .address_space:  global
        .offset:         0
        .size:           8
        .value_kind:     global_buffer
      - .address_space:  global
        .offset:         8
        .size:           8
        .value_kind:     global_buffer
      - .offset:         16
        .size:           8
        .value_kind:     by_value
      - .actual_access:  read_only
        .address_space:  global
        .offset:         24
        .size:           8
        .value_kind:     global_buffer
      - .actual_access:  read_only
        .address_space:  global
        .offset:         32
        .size:           8
        .value_kind:     global_buffer
      - .actual_access:  read_only
        .address_space:  global
        .offset:         40
        .size:           8
        .value_kind:     global_buffer
      - .offset:         48
        .size:           8
        .value_kind:     by_value
      - .actual_access:  read_only
        .address_space:  global
        .offset:         56
        .size:           8
        .value_kind:     global_buffer
      - .actual_access:  read_only
        .address_space:  global
        .offset:         64
        .size:           8
        .value_kind:     global_buffer
      - .offset:         72
        .size:           4
        .value_kind:     by_value
      - .actual_access:  read_only
        .address_space:  global
        .offset:         80
        .size:           8
        .value_kind:     global_buffer
      - .actual_access:  read_only
        .address_space:  global
        .offset:         88
        .size:           8
        .value_kind:     global_buffer
      - .actual_access:  read_only
        .address_space:  global
        .offset:         96
        .size:           8
        .value_kind:     global_buffer
      - .actual_access:  write_only
        .address_space:  global
        .offset:         104
        .size:           8
        .value_kind:     global_buffer
    .group_segment_fixed_size: 0
    .kernarg_segment_align: 8
    .kernarg_segment_size: 112
    .language:       OpenCL C
    .language_version:
      - 2
      - 0
    .max_flat_workgroup_size: 256
    .name:           fft_rtc_back_len64_factors_8_8_wgs_256_tpt_8_half_op_CI_CI_sbcc_twdbase6_3step
    .private_segment_fixed_size: 0
    .sgpr_count:     55
    .sgpr_spill_count: 0
    .symbol:         fft_rtc_back_len64_factors_8_8_wgs_256_tpt_8_half_op_CI_CI_sbcc_twdbase6_3step.kd
    .uniform_work_group_size: 1
    .uses_dynamic_stack: false
    .vgpr_count:     79
    .vgpr_spill_count: 0
    .wavefront_size: 32
    .workgroup_processor_mode: 1
amdhsa.target:   amdgcn-amd-amdhsa--gfx1030
amdhsa.version:
  - 1
  - 2
...

	.end_amdgpu_metadata
